;; amdgpu-corpus repo=ROCm/rocFFT kind=compiled arch=gfx1030 opt=O3
	.text
	.amdgcn_target "amdgcn-amd-amdhsa--gfx1030"
	.amdhsa_code_object_version 6
	.protected	fft_rtc_back_len819_factors_9_7_13_wgs_117_tpt_117_half_ip_CI_sbrr_dirReg ; -- Begin function fft_rtc_back_len819_factors_9_7_13_wgs_117_tpt_117_half_ip_CI_sbrr_dirReg
	.globl	fft_rtc_back_len819_factors_9_7_13_wgs_117_tpt_117_half_ip_CI_sbrr_dirReg
	.p2align	8
	.type	fft_rtc_back_len819_factors_9_7_13_wgs_117_tpt_117_half_ip_CI_sbrr_dirReg,@function
fft_rtc_back_len819_factors_9_7_13_wgs_117_tpt_117_half_ip_CI_sbrr_dirReg: ; @fft_rtc_back_len819_factors_9_7_13_wgs_117_tpt_117_half_ip_CI_sbrr_dirReg
; %bb.0:
	s_clause 0x2
	s_load_dwordx2 s[14:15], s[4:5], 0x18
	s_load_dwordx4 s[8:11], s[4:5], 0x0
	s_load_dwordx2 s[12:13], s[4:5], 0x50
	v_mul_u32_u24_e32 v1, 0x231, v0
	v_mov_b32_e32 v3, 0
	v_add_nc_u32_sdwa v5, s6, v1 dst_sel:DWORD dst_unused:UNUSED_PAD src0_sel:DWORD src1_sel:WORD_1
	v_mov_b32_e32 v1, 0
	v_mov_b32_e32 v6, v3
	v_mov_b32_e32 v2, 0
	s_waitcnt lgkmcnt(0)
	s_load_dwordx2 s[2:3], s[14:15], 0x0
	v_cmp_lt_u64_e64 s0, s[10:11], 2
	s_and_b32 vcc_lo, exec_lo, s0
	s_cbranch_vccnz .LBB0_8
; %bb.1:
	s_load_dwordx2 s[0:1], s[4:5], 0x10
	v_mov_b32_e32 v1, 0
	s_add_u32 s6, s14, 8
	v_mov_b32_e32 v2, 0
	s_addc_u32 s7, s15, 0
	s_mov_b64 s[18:19], 1
	s_waitcnt lgkmcnt(0)
	s_add_u32 s16, s0, 8
	s_addc_u32 s17, s1, 0
.LBB0_2:                                ; =>This Inner Loop Header: Depth=1
	s_load_dwordx2 s[20:21], s[16:17], 0x0
                                        ; implicit-def: $vgpr7_vgpr8
	s_mov_b32 s0, exec_lo
	s_waitcnt lgkmcnt(0)
	v_or_b32_e32 v4, s21, v6
	v_cmpx_ne_u64_e32 0, v[3:4]
	s_xor_b32 s1, exec_lo, s0
	s_cbranch_execz .LBB0_4
; %bb.3:                                ;   in Loop: Header=BB0_2 Depth=1
	v_cvt_f32_u32_e32 v4, s20
	v_cvt_f32_u32_e32 v7, s21
	s_sub_u32 s0, 0, s20
	s_subb_u32 s22, 0, s21
	v_fmac_f32_e32 v4, 0x4f800000, v7
	v_rcp_f32_e32 v4, v4
	v_mul_f32_e32 v4, 0x5f7ffffc, v4
	v_mul_f32_e32 v7, 0x2f800000, v4
	v_trunc_f32_e32 v7, v7
	v_fmac_f32_e32 v4, 0xcf800000, v7
	v_cvt_u32_f32_e32 v7, v7
	v_cvt_u32_f32_e32 v4, v4
	v_mul_lo_u32 v8, s0, v7
	v_mul_hi_u32 v9, s0, v4
	v_mul_lo_u32 v10, s22, v4
	v_add_nc_u32_e32 v8, v9, v8
	v_mul_lo_u32 v9, s0, v4
	v_add_nc_u32_e32 v8, v8, v10
	v_mul_hi_u32 v10, v4, v9
	v_mul_lo_u32 v11, v4, v8
	v_mul_hi_u32 v12, v4, v8
	v_mul_hi_u32 v13, v7, v9
	v_mul_lo_u32 v9, v7, v9
	v_mul_hi_u32 v14, v7, v8
	v_mul_lo_u32 v8, v7, v8
	v_add_co_u32 v10, vcc_lo, v10, v11
	v_add_co_ci_u32_e32 v11, vcc_lo, 0, v12, vcc_lo
	v_add_co_u32 v9, vcc_lo, v10, v9
	v_add_co_ci_u32_e32 v9, vcc_lo, v11, v13, vcc_lo
	v_add_co_ci_u32_e32 v10, vcc_lo, 0, v14, vcc_lo
	v_add_co_u32 v8, vcc_lo, v9, v8
	v_add_co_ci_u32_e32 v9, vcc_lo, 0, v10, vcc_lo
	v_add_co_u32 v4, vcc_lo, v4, v8
	v_add_co_ci_u32_e32 v7, vcc_lo, v7, v9, vcc_lo
	v_mul_hi_u32 v8, s0, v4
	v_mul_lo_u32 v10, s22, v4
	v_mul_lo_u32 v9, s0, v7
	v_add_nc_u32_e32 v8, v8, v9
	v_mul_lo_u32 v9, s0, v4
	v_add_nc_u32_e32 v8, v8, v10
	v_mul_hi_u32 v10, v4, v9
	v_mul_lo_u32 v11, v4, v8
	v_mul_hi_u32 v12, v4, v8
	v_mul_hi_u32 v13, v7, v9
	v_mul_lo_u32 v9, v7, v9
	v_mul_hi_u32 v14, v7, v8
	v_mul_lo_u32 v8, v7, v8
	v_add_co_u32 v10, vcc_lo, v10, v11
	v_add_co_ci_u32_e32 v11, vcc_lo, 0, v12, vcc_lo
	v_add_co_u32 v9, vcc_lo, v10, v9
	v_add_co_ci_u32_e32 v9, vcc_lo, v11, v13, vcc_lo
	v_add_co_ci_u32_e32 v10, vcc_lo, 0, v14, vcc_lo
	v_add_co_u32 v8, vcc_lo, v9, v8
	v_add_co_ci_u32_e32 v9, vcc_lo, 0, v10, vcc_lo
	v_add_co_u32 v4, vcc_lo, v4, v8
	v_add_co_ci_u32_e32 v11, vcc_lo, v7, v9, vcc_lo
	v_mul_hi_u32 v13, v5, v4
	v_mad_u64_u32 v[9:10], null, v6, v4, 0
	v_mad_u64_u32 v[7:8], null, v5, v11, 0
	;; [unrolled: 1-line block ×3, first 2 shown]
	v_add_co_u32 v4, vcc_lo, v13, v7
	v_add_co_ci_u32_e32 v7, vcc_lo, 0, v8, vcc_lo
	v_add_co_u32 v4, vcc_lo, v4, v9
	v_add_co_ci_u32_e32 v4, vcc_lo, v7, v10, vcc_lo
	v_add_co_ci_u32_e32 v7, vcc_lo, 0, v12, vcc_lo
	v_add_co_u32 v4, vcc_lo, v4, v11
	v_add_co_ci_u32_e32 v9, vcc_lo, 0, v7, vcc_lo
	v_mul_lo_u32 v10, s21, v4
	v_mad_u64_u32 v[7:8], null, s20, v4, 0
	v_mul_lo_u32 v11, s20, v9
	v_sub_co_u32 v7, vcc_lo, v5, v7
	v_add3_u32 v8, v8, v11, v10
	v_sub_nc_u32_e32 v10, v6, v8
	v_subrev_co_ci_u32_e64 v10, s0, s21, v10, vcc_lo
	v_add_co_u32 v11, s0, v4, 2
	v_add_co_ci_u32_e64 v12, s0, 0, v9, s0
	v_sub_co_u32 v13, s0, v7, s20
	v_sub_co_ci_u32_e32 v8, vcc_lo, v6, v8, vcc_lo
	v_subrev_co_ci_u32_e64 v10, s0, 0, v10, s0
	v_cmp_le_u32_e32 vcc_lo, s20, v13
	v_cmp_eq_u32_e64 s0, s21, v8
	v_cndmask_b32_e64 v13, 0, -1, vcc_lo
	v_cmp_le_u32_e32 vcc_lo, s21, v10
	v_cndmask_b32_e64 v14, 0, -1, vcc_lo
	v_cmp_le_u32_e32 vcc_lo, s20, v7
	;; [unrolled: 2-line block ×3, first 2 shown]
	v_cndmask_b32_e64 v15, 0, -1, vcc_lo
	v_cmp_eq_u32_e32 vcc_lo, s21, v10
	v_cndmask_b32_e64 v7, v15, v7, s0
	v_cndmask_b32_e32 v10, v14, v13, vcc_lo
	v_add_co_u32 v13, vcc_lo, v4, 1
	v_add_co_ci_u32_e32 v14, vcc_lo, 0, v9, vcc_lo
	v_cmp_ne_u32_e32 vcc_lo, 0, v10
	v_cndmask_b32_e32 v8, v14, v12, vcc_lo
	v_cndmask_b32_e32 v10, v13, v11, vcc_lo
	v_cmp_ne_u32_e32 vcc_lo, 0, v7
	v_cndmask_b32_e32 v8, v9, v8, vcc_lo
	v_cndmask_b32_e32 v7, v4, v10, vcc_lo
.LBB0_4:                                ;   in Loop: Header=BB0_2 Depth=1
	s_andn2_saveexec_b32 s0, s1
	s_cbranch_execz .LBB0_6
; %bb.5:                                ;   in Loop: Header=BB0_2 Depth=1
	v_cvt_f32_u32_e32 v4, s20
	s_sub_i32 s1, 0, s20
	v_rcp_iflag_f32_e32 v4, v4
	v_mul_f32_e32 v4, 0x4f7ffffe, v4
	v_cvt_u32_f32_e32 v4, v4
	v_mul_lo_u32 v7, s1, v4
	v_mul_hi_u32 v7, v4, v7
	v_add_nc_u32_e32 v4, v4, v7
	v_mul_hi_u32 v4, v5, v4
	v_mul_lo_u32 v7, v4, s20
	v_add_nc_u32_e32 v8, 1, v4
	v_sub_nc_u32_e32 v7, v5, v7
	v_subrev_nc_u32_e32 v9, s20, v7
	v_cmp_le_u32_e32 vcc_lo, s20, v7
	v_cndmask_b32_e32 v7, v7, v9, vcc_lo
	v_cndmask_b32_e32 v4, v4, v8, vcc_lo
	v_cmp_le_u32_e32 vcc_lo, s20, v7
	v_add_nc_u32_e32 v8, 1, v4
	v_cndmask_b32_e32 v7, v4, v8, vcc_lo
	v_mov_b32_e32 v8, v3
.LBB0_6:                                ;   in Loop: Header=BB0_2 Depth=1
	s_or_b32 exec_lo, exec_lo, s0
	s_load_dwordx2 s[0:1], s[6:7], 0x0
	v_mul_lo_u32 v4, v8, s20
	v_mul_lo_u32 v11, v7, s21
	v_mad_u64_u32 v[9:10], null, v7, s20, 0
	s_add_u32 s18, s18, 1
	s_addc_u32 s19, s19, 0
	s_add_u32 s6, s6, 8
	s_addc_u32 s7, s7, 0
	;; [unrolled: 2-line block ×3, first 2 shown]
	v_add3_u32 v4, v10, v11, v4
	v_sub_co_u32 v5, vcc_lo, v5, v9
	v_sub_co_ci_u32_e32 v4, vcc_lo, v6, v4, vcc_lo
	s_waitcnt lgkmcnt(0)
	v_mul_lo_u32 v6, s1, v5
	v_mul_lo_u32 v4, s0, v4
	v_mad_u64_u32 v[1:2], null, s0, v5, v[1:2]
	v_cmp_ge_u64_e64 s0, s[18:19], s[10:11]
	s_and_b32 vcc_lo, exec_lo, s0
	v_add3_u32 v2, v6, v2, v4
	s_cbranch_vccnz .LBB0_9
; %bb.7:                                ;   in Loop: Header=BB0_2 Depth=1
	v_mov_b32_e32 v5, v7
	v_mov_b32_e32 v6, v8
	s_branch .LBB0_2
.LBB0_8:
	v_mov_b32_e32 v8, v6
	v_mov_b32_e32 v7, v5
.LBB0_9:
	s_lshl_b64 s[0:1], s[10:11], 3
	v_mul_hi_u32 v3, 0x2302303, v0
	s_add_u32 s0, s14, s0
	s_addc_u32 s1, s15, s1
	v_mov_b32_e32 v11, 0
	s_load_dwordx2 s[0:1], s[0:1], 0x0
	s_load_dwordx2 s[4:5], s[4:5], 0x20
                                        ; implicit-def: $vgpr6
                                        ; implicit-def: $vgpr15
                                        ; implicit-def: $vgpr12
	v_mul_u32_u24_e32 v3, 0x75, v3
	v_sub_nc_u32_e32 v14, v0, v3
                                        ; implicit-def: $vgpr3
	s_waitcnt lgkmcnt(0)
	v_mul_lo_u32 v4, s0, v8
	v_mul_lo_u32 v5, s1, v7
	v_mad_u64_u32 v[1:2], null, s0, v7, v[1:2]
	v_cmp_gt_u64_e32 vcc_lo, s[4:5], v[7:8]
	v_cmp_gt_u32_e64 s0, 0x5b, v14
                                        ; implicit-def: $vgpr8
	s_and_b32 s1, vcc_lo, s0
	v_add3_u32 v2, v5, v2, v4
	v_mov_b32_e32 v4, 0
	v_mov_b32_e32 v5, 0
	v_lshlrev_b64 v[0:1], 2, v[1:2]
	v_mov_b32_e32 v2, 0
	s_and_saveexec_b32 s4, s1
	s_cbranch_execz .LBB0_11
; %bb.10:
	v_add_nc_u32_e32 v10, 0x5b, v14
	v_add_nc_u32_e32 v12, 0xb6, v14
	v_mad_u64_u32 v[2:3], null, s2, v14, 0
	v_add_nc_u32_e32 v13, 0x111, v14
	v_mad_u64_u32 v[4:5], null, s2, v10, 0
	v_mad_u64_u32 v[6:7], null, s2, v12, 0
	v_add_nc_u32_e32 v17, 0x16c, v14
	v_add_nc_u32_e32 v19, 0x1c7, v14
	;; [unrolled: 1-line block ×3, first 2 shown]
	v_add_co_u32 v25, s1, s12, v0
	v_mad_u64_u32 v[8:9], null, s3, v14, v[3:4]
	v_mad_u64_u32 v[9:10], null, s3, v10, v[5:6]
	;; [unrolled: 1-line block ×4, first 2 shown]
	v_mov_b32_e32 v3, v8
	v_mad_u64_u32 v[7:8], null, s3, v12, v[7:8]
	v_mov_b32_e32 v5, v9
	v_mov_b32_e32 v8, v11
	v_lshlrev_b64 v[2:3], 2, v[2:3]
	v_add_co_ci_u32_e64 v26, s1, s13, v1, s1
	v_lshlrev_b64 v[4:5], 2, v[4:5]
	v_mad_u64_u32 v[8:9], null, s3, v13, v[8:9]
	v_mad_u64_u32 v[12:13], null, s2, v17, 0
	v_add_nc_u32_e32 v24, 0x27d, v14
	v_add_co_u32 v2, s1, v25, v2
	v_lshlrev_b64 v[6:7], 2, v[6:7]
	v_mov_b32_e32 v11, v8
	v_add_nc_u32_e32 v27, 0x2d8, v14
	v_mov_b32_e32 v8, v13
	v_add_co_ci_u32_e64 v3, s1, v26, v3, s1
	v_lshlrev_b64 v[10:11], 2, v[10:11]
	v_add_co_u32 v4, s1, v25, v4
	v_mad_u64_u32 v[8:9], null, s3, v17, v[8:9]
	v_mad_u64_u32 v[17:18], null, s2, v21, 0
	v_mov_b32_e32 v9, v16
	v_add_co_ci_u32_e64 v5, s1, v26, v5, s1
	v_add_co_u32 v6, s1, v25, v6
	v_mov_b32_e32 v13, v8
	v_mad_u64_u32 v[8:9], null, s3, v19, v[9:10]
	v_mov_b32_e32 v9, v18
	v_mad_u64_u32 v[19:20], null, s2, v24, 0
	v_add_co_ci_u32_e64 v7, s1, v26, v7, s1
	v_mad_u64_u32 v[21:22], null, s3, v21, v[9:10]
	v_mad_u64_u32 v[22:23], null, s2, v27, 0
	v_add_co_u32 v9, s1, v25, v10
	v_lshlrev_b64 v[12:13], 2, v[12:13]
	v_add_co_ci_u32_e64 v10, s1, v26, v11, s1
	v_mov_b32_e32 v11, v20
	v_mov_b32_e32 v16, v8
	;; [unrolled: 1-line block ×4, first 2 shown]
	v_mad_u64_u32 v[20:21], null, s3, v24, v[11:12]
	v_lshlrev_b64 v[15:16], 2, v[15:16]
	v_mad_u64_u32 v[23:24], null, s3, v27, v[8:9]
	v_add_co_u32 v12, s1, v25, v12
	v_lshlrev_b64 v[17:18], 2, v[17:18]
	v_add_co_ci_u32_e64 v13, s1, v26, v13, s1
	v_add_co_u32 v15, s1, v25, v15
	v_lshlrev_b64 v[19:20], 2, v[19:20]
	v_add_co_ci_u32_e64 v16, s1, v26, v16, s1
	;; [unrolled: 3-line block ×3, first 2 shown]
	v_add_co_u32 v19, s1, v25, v19
	v_add_co_ci_u32_e64 v20, s1, v26, v20, s1
	v_add_co_u32 v21, s1, v25, v21
	v_add_co_ci_u32_e64 v22, s1, v26, v22, s1
	s_clause 0x8
	global_load_dword v3, v[2:3], off
	global_load_dword v5, v[4:5], off
	;; [unrolled: 1-line block ×9, first 2 shown]
.LBB0_11:
	s_or_b32 exec_lo, exec_lo, s4
	s_waitcnt vmcnt(0)
	v_pk_add_f16 v7, v5, v8
	v_pk_add_f16 v10, v11, v12
	v_pk_add_f16 v9, v5, v8 neg_lo:[0,1] neg_hi:[0,1]
	v_pk_add_f16 v11, v11, v12 neg_lo:[0,1] neg_hi:[0,1]
	v_pk_add_f16 v13, v4, v6 neg_lo:[0,1] neg_hi:[0,1]
	v_pk_add_f16 v12, v4, v6
	v_pk_add_f16 v8, v2, v15
	v_pk_mul_f16 v5, 0x3924, v9 op_sel_hi:[0,1]
	v_pk_fma_f16 v16, 0x3a21, v7, v3 op_sel_hi:[0,1,1]
	v_pk_add_f16 v19, v2, v15 neg_lo:[0,1] neg_hi:[0,1]
	v_pk_mul_f16 v2, 0x3924, v13 op_sel_hi:[0,1]
	v_pk_fma_f16 v15, 0x3a21, v12, v3 op_sel_hi:[0,1,1]
	v_pk_fma_f16 v5, 0x3be1, v11, v5 op_sel_hi:[0,1,1]
	;; [unrolled: 1-line block ×3, first 2 shown]
	v_pk_fma_f16 v2, 0x3be1, v9, v2 op_sel_hi:[0,1,1] neg_lo:[0,0,1] neg_hi:[0,0,1]
	v_pk_fma_f16 v15, 0x318f, v7, v15 op_sel_hi:[0,1,1]
	v_pk_fma_f16 v5, 0x3aee, v19, v5 op_sel_hi:[0,1,1]
	v_pk_fma_f16 v16, v8, 0.5, v16 op_sel_hi:[1,0,1] neg_lo:[1,0,0] neg_hi:[1,0,0]
	v_pk_fma_f16 v2, 0x3aee, v19, v2 op_sel_hi:[0,1,1] neg_lo:[0,1,0] neg_hi:[0,1,0]
	v_pk_fma_f16 v15, v8, 0.5, v15 op_sel_hi:[1,0,1] neg_lo:[1,0,0] neg_hi:[1,0,0]
	v_pk_fma_f16 v20, 0x3579, v13, v5 op_sel_hi:[0,1,1]
	v_pk_fma_f16 v5, 0x3b84, v12, v16 op_sel_hi:[0,1,1] neg_lo:[0,1,0] neg_hi:[0,1,0]
	v_pk_fma_f16 v21, 0x3579, v11, v2 op_sel_hi:[0,1,1]
	v_pk_fma_f16 v2, 0x3b84, v10, v15 op_sel_hi:[0,1,1] neg_lo:[0,1,0] neg_hi:[0,1,0]
	v_pk_add_f16 v15, v5, v20 op_sel:[1,0] op_sel_hi:[0,1] neg_lo:[0,1] neg_hi:[0,1]
	v_pk_add_f16 v16, v5, v20 op_sel:[1,0] op_sel_hi:[0,1]
	v_pk_add_f16 v17, v2, v21 op_sel:[0,1] op_sel_hi:[1,0]
	v_pk_add_f16 v18, v2, v21 op_sel:[0,1] op_sel_hi:[1,0] neg_lo:[0,1] neg_hi:[0,1]
	v_lshrrev_b32_e32 v2, 16, v21
	v_bfi_b32 v22, 0xffff, v16, v15
	v_lshrrev_b32_e32 v32, 16, v17
	v_fma_f16 v5, 2.0, v2, v18
	v_pk_fma_f16 v2, v20, 2.0, v22 op_sel_hi:[1,0,1]
	v_pk_fma_f16 v29, v20, 2.0, v22 op_sel_hi:[1,0,1] neg_lo:[1,0,0] neg_hi:[1,0,0]
	v_fmac_f16_e32 v32, -2.0, v21
	s_and_saveexec_b32 s1, s0
	s_cbranch_execz .LBB0_13
; %bb.12:
	v_pk_mul_f16 v20, 0xbbe1, v13 op_sel_hi:[0,1]
	v_pk_fma_f16 v21, 0x3a21, v10, v3 op_sel_hi:[0,1,1]
	v_pk_mul_f16 v19, 0x3aee, v19 op_sel_hi:[0,1]
	v_pk_add_f16 v13, v13, v9
	v_pk_mul_f16 v22, v8, 0.5 op_sel_hi:[1,0]
	v_pk_add_f16 v10, v10, v7
	v_pk_fma_f16 v20, 0xb924, v11, v20 op_sel_hi:[0,1,1]
	v_pk_fma_f16 v21, 0x318f, v12, v21 op_sel_hi:[0,1,1]
	v_pk_add_f16 v11, v13, v11 neg_lo:[0,1] neg_hi:[0,1]
	v_pk_add_f16 v13, v3, v8
	v_pk_add_f16 v12, v12, v10
	;; [unrolled: 1-line block ×3, first 2 shown]
	v_pk_add_f16 v20, v21, v22 neg_lo:[0,1] neg_hi:[0,1]
	v_pk_mul_f16 v11, 0x3aee, v11 op_sel_hi:[0,1]
	v_pk_add_f16 v8, v8, v10
	v_pk_fma_f16 v12, v12, -0.5, v13 op_sel_hi:[1,0,1]
	v_pk_fma_f16 v9, 0x3579, v9, v19 op_sel_hi:[0,1,1]
	v_pk_fma_f16 v7, 0xbb84, v7, v20 op_sel_hi:[0,1,1]
	v_alignbit_b32 v15, v16, v15, 16
	v_pk_add_f16 v4, v4, v8
	v_pk_add_f16 v10, v12, v11 op_sel:[0,1] op_sel_hi:[1,0] neg_lo:[0,1] neg_hi:[0,1]
	v_pk_add_f16 v12, v12, v11 op_sel:[0,1] op_sel_hi:[1,0]
	v_pk_add_f16 v13, v7, v9 op_sel:[0,1] op_sel_hi:[1,0] neg_lo:[0,1] neg_hi:[0,1]
	v_pk_add_f16 v7, v7, v9 op_sel:[0,1] op_sel_hi:[1,0]
	v_pk_add_f16 v4, v6, v4
	v_bfi_b32 v8, 0xffff, v10, v12
	v_bfi_b32 v10, 0xffff, v18, v17
	;; [unrolled: 1-line block ×3, first 2 shown]
	v_mad_u32_u24 v13, v14, 36, 0
	v_pk_add_f16 v3, v3, v4
	v_pk_fma_f16 v6, v11, 2.0, v8 op_sel:[1,0,0] op_sel_hi:[0,0,1]
	v_pk_fma_f16 v11, v11, 2.0, v8 op_sel:[1,0,0] op_sel_hi:[0,0,1] neg_lo:[1,0,0] neg_hi:[1,0,0]
	v_pk_fma_f16 v12, v9, 2.0, v7 op_sel:[1,0,0] op_sel_hi:[0,0,1]
	v_pk_fma_f16 v9, v9, 2.0, v7 op_sel:[1,0,0] op_sel_hi:[0,0,1] neg_lo:[1,0,0] neg_hi:[1,0,0]
	v_bfi_b32 v4, 0xffff, v6, v11
	v_alignbit_b32 v11, v29, v2, 16
	v_bfi_b32 v6, 0xffff, v12, v9
	v_perm_b32 v9, v32, v5, 0x5040100
	ds_write2_b32 v13, v3, v15 offset1:1
	ds_write2_b32 v13, v10, v8 offset0:2 offset1:3
	ds_write_b32 v13, v7 offset:16
	ds_write2_b32 v13, v6, v4 offset0:5 offset1:6
	ds_write2_b32 v13, v9, v11 offset0:7 offset1:8
.LBB0_13:
	s_or_b32 exec_lo, exec_lo, s1
	v_and_b32_e32 v3, 0xff, v14
	v_mov_b32_e32 v4, 6
	s_waitcnt lgkmcnt(0)
	s_barrier
	buffer_gl0_inv
	v_mul_lo_u16 v3, v3, 57
	v_lshl_add_u32 v12, v14, 2, 0
	v_lshrrev_b32_e32 v6, 16, v2
	v_bfrev_b32_e32 v23, 0.5
	v_mov_b32_e32 v24, 2
	v_lshrrev_b16 v13, 9, v3
	v_add_nc_u32_e32 v16, 0x200, v12
	v_add_nc_u32_e32 v7, 0x600, v12
	v_cmp_gt_u32_e64 s0, 63, v14
	v_mul_lo_u16 v3, v13, 9
	v_mul_u32_u24_sdwa v13, v13, v23 dst_sel:DWORD dst_unused:UNUSED_PAD src0_sel:WORD_0 src1_sel:DWORD
	v_sub_nc_u16 v15, v14, v3
	v_mul_u32_u24_sdwa v3, v15, v4 dst_sel:DWORD dst_unused:UNUSED_PAD src0_sel:BYTE_0 src1_sel:DWORD
	v_lshlrev_b32_sdwa v15, v24, v15 dst_sel:DWORD dst_unused:UNUSED_PAD src0_sel:DWORD src1_sel:BYTE_0
	v_lshlrev_b32_e32 v3, 2, v3
	v_add3_u32 v13, 0, v13, v15
	s_clause 0x1
	global_load_dwordx4 v[8:11], v3, s[8:9]
	global_load_dwordx2 v[3:4], v3, s[8:9] offset:16
	ds_read2_b32 v[17:18], v12 offset1:117
	ds_read2_b32 v[19:20], v16 offset0:106 offset1:223
	ds_read2_b32 v[21:22], v7 offset0:84 offset1:201
	ds_read_u16 v2, v12 offset:2810
	ds_read_b32 v25, v12 offset:2808
	s_waitcnt vmcnt(0) lgkmcnt(0)
	s_barrier
	buffer_gl0_inv
	v_lshrrev_b32_e32 v23, 16, v18
	v_lshrrev_b32_e32 v24, 16, v19
	;; [unrolled: 1-line block ×5, first 2 shown]
	v_mul_f16_sdwa v15, v8, v23 dst_sel:DWORD dst_unused:UNUSED_PAD src0_sel:WORD_1 src1_sel:DWORD
	v_mul_f16_sdwa v30, v8, v18 dst_sel:DWORD dst_unused:UNUSED_PAD src0_sel:WORD_1 src1_sel:DWORD
	v_mul_f16_sdwa v31, v9, v24 dst_sel:DWORD dst_unused:UNUSED_PAD src0_sel:WORD_1 src1_sel:DWORD
	v_mul_f16_sdwa v33, v9, v19 dst_sel:DWORD dst_unused:UNUSED_PAD src0_sel:WORD_1 src1_sel:DWORD
	v_mul_f16_sdwa v38, v3, v28 dst_sel:DWORD dst_unused:UNUSED_PAD src0_sel:WORD_1 src1_sel:DWORD
	v_mul_f16_sdwa v39, v3, v22 dst_sel:DWORD dst_unused:UNUSED_PAD src0_sel:WORD_1 src1_sel:DWORD
	v_mul_f16_sdwa v40, v2, v4 dst_sel:DWORD dst_unused:UNUSED_PAD src0_sel:DWORD src1_sel:WORD_1
	v_mul_f16_sdwa v41, v4, v25 dst_sel:DWORD dst_unused:UNUSED_PAD src0_sel:WORD_1 src1_sel:DWORD
	v_mul_f16_sdwa v34, v10, v26 dst_sel:DWORD dst_unused:UNUSED_PAD src0_sel:WORD_1 src1_sel:DWORD
	;; [unrolled: 1-line block ×5, first 2 shown]
	v_fmac_f16_e32 v15, v8, v18
	v_fma_f16 v8, v8, v23, -v30
	v_fmac_f16_e32 v31, v9, v19
	v_fma_f16 v9, v9, v24, -v33
	;; [unrolled: 2-line block ×6, first 2 shown]
	v_add_f16_e32 v11, v15, v40
	v_add_f16_e32 v18, v8, v2
	v_sub_f16_e32 v2, v8, v2
	v_add_f16_e32 v8, v31, v38
	v_add_f16_e32 v19, v9, v3
	v_sub_f16_e32 v20, v31, v38
	v_sub_f16_e32 v3, v9, v3
	v_add_f16_e32 v9, v34, v36
	v_add_f16_e32 v21, v10, v4
	v_sub_f16_e32 v22, v36, v34
	;; [unrolled: 4-line block ×3, first 2 shown]
	v_sub_f16_e32 v24, v8, v11
	v_sub_f16_e32 v25, v19, v18
	;; [unrolled: 1-line block ×6, first 2 shown]
	v_add_f16_e32 v26, v22, v20
	v_add_f16_e32 v27, v4, v3
	v_sub_f16_e32 v28, v22, v20
	v_sub_f16_e32 v30, v4, v3
	v_add_f16_e32 v9, v9, v10
	v_add_f16_e32 v10, v21, v23
	v_sub_f16_e32 v20, v20, v15
	v_sub_f16_e32 v3, v3, v2
	;; [unrolled: 1-line block ×4, first 2 shown]
	v_add_f16_e32 v21, v26, v15
	v_add_f16_e32 v23, v27, v2
	v_mul_f16_e32 v11, 0x3a52, v11
	v_mul_f16_e32 v18, 0x3a52, v18
	;; [unrolled: 1-line block ×6, first 2 shown]
	v_add_f16_e32 v2, v9, v17
	v_add_f16_sdwa v15, v10, v17 dst_sel:DWORD dst_unused:UNUSED_PAD src0_sel:DWORD src1_sel:WORD_1
	v_mul_f16_e32 v31, 0xbb00, v20
	v_mul_f16_e32 v33, 0xbb00, v3
	v_fmamk_f16 v8, v8, 0x2b26, v11
	v_fmamk_f16 v17, v19, 0x2b26, v18
	v_fma_f16 v19, v24, 0x39e0, -v26
	v_fma_f16 v26, v25, 0x39e0, -v27
	;; [unrolled: 1-line block ×4, first 2 shown]
	v_fmamk_f16 v24, v22, 0xb574, v28
	v_fmamk_f16 v25, v4, 0xb574, v30
	v_fma_f16 v27, v3, 0xbb00, -v30
	v_fmamk_f16 v3, v9, 0xbcab, v2
	v_fmamk_f16 v9, v10, 0xbcab, v15
	v_fma_f16 v20, v20, 0xbb00, -v28
	v_fma_f16 v22, v22, 0x3574, -v31
	;; [unrolled: 1-line block ×3, first 2 shown]
	v_fmac_f16_e32 v24, 0xb70e, v21
	v_fmac_f16_e32 v25, 0xb70e, v23
	v_add_f16_e32 v28, v8, v3
	v_add_f16_e32 v17, v17, v9
	v_fmac_f16_e32 v20, 0xb70e, v21
	v_fmac_f16_e32 v27, 0xb70e, v23
	;; [unrolled: 1-line block ×4, first 2 shown]
	v_add_f16_e32 v8, v19, v3
	v_add_f16_e32 v19, v11, v3
	;; [unrolled: 1-line block ×5, first 2 shown]
	v_sub_f16_e32 v21, v17, v24
	v_add_f16_e32 v10, v4, v19
	v_sub_f16_e32 v31, v18, v22
	v_sub_f16_e32 v11, v8, v27
	v_add_f16_e32 v30, v20, v9
	v_add_f16_e32 v8, v27, v8
	v_sub_f16_e32 v33, v9, v20
	v_sub_f16_e32 v9, v19, v4
	v_add_f16_e32 v35, v22, v18
	v_sub_f16_e32 v4, v28, v25
	v_add_f16_e32 v36, v24, v17
	v_pack_b32_f16 v23, v2, v15
	v_pack_b32_f16 v17, v3, v21
	;; [unrolled: 1-line block ×7, first 2 shown]
	ds_write2_b32 v13, v23, v17 offset1:9
	ds_write2_b32 v13, v18, v19 offset0:18 offset1:27
	ds_write2_b32 v13, v20, v22 offset0:36 offset1:45
	ds_write_b32 v13, v24 offset:216
	s_waitcnt lgkmcnt(0)
	s_barrier
	buffer_gl0_inv
                                        ; implicit-def: $vgpr34
                                        ; implicit-def: $vgpr20
                                        ; implicit-def: $vgpr39
                                        ; implicit-def: $vgpr13
                                        ; implicit-def: $vgpr38
                                        ; implicit-def: $vgpr37
	s_and_saveexec_b32 s1, s0
	s_cbranch_execnz .LBB0_16
; %bb.14:
	s_or_b32 exec_lo, exec_lo, s1
	s_and_b32 s0, vcc_lo, s0
	s_and_saveexec_b32 s1, s0
	s_cbranch_execnz .LBB0_17
.LBB0_15:
	s_endpgm
.LBB0_16:
	v_add_nc_u32_e32 v4, 0x800, v12
	v_add_nc_u32_e32 v5, 0x400, v12
	ds_read2_b32 v[2:3], v12 offset1:63
	ds_read2_b32 v[6:7], v7 offset0:120 offset1:183
	ds_read_b32 v20, v12 offset:3024
	ds_read2_b32 v[10:11], v12 offset0:126 offset1:189
	ds_read2_b32 v[8:9], v16 offset0:124 offset1:187
	;; [unrolled: 1-line block ×4, first 2 shown]
	s_waitcnt lgkmcnt(6)
	v_lshrrev_b32_e32 v15, 16, v2
	s_waitcnt lgkmcnt(5)
	v_lshrrev_b32_e32 v29, 16, v6
	v_lshrrev_b32_e32 v37, 16, v7
	s_waitcnt lgkmcnt(4)
	v_lshrrev_b32_e32 v34, 16, v20
	;; [unrolled: 3-line block ×6, first 2 shown]
	v_lshrrev_b32_e32 v32, 16, v5
	s_or_b32 exec_lo, exec_lo, s1
	s_and_b32 s0, vcc_lo, s0
	s_and_saveexec_b32 s1, s0
	s_cbranch_execz .LBB0_15
.LBB0_17:
	v_mul_u32_u24_e32 v16, 12, v14
	v_lshlrev_b32_e32 v16, 2, v16
	s_clause 0x2
	global_load_dwordx4 v[40:43], v16, s[8:9] offset:216
	global_load_dwordx4 v[44:47], v16, s[8:9] offset:248
	;; [unrolled: 1-line block ×3, first 2 shown]
	s_waitcnt vmcnt(2)
	v_mul_f16_sdwa v52, v21, v40 dst_sel:DWORD dst_unused:UNUSED_PAD src0_sel:DWORD src1_sel:WORD_1
	s_waitcnt vmcnt(1)
	v_mul_f16_sdwa v16, v34, v47 dst_sel:DWORD dst_unused:UNUSED_PAD src0_sel:DWORD src1_sel:WORD_1
	v_mul_f16_sdwa v53, v20, v47 dst_sel:DWORD dst_unused:UNUSED_PAD src0_sel:DWORD src1_sel:WORD_1
	;; [unrolled: 1-line block ×11, first 2 shown]
	s_waitcnt vmcnt(0)
	v_mul_f16_sdwa v22, v29, v51 dst_sel:DWORD dst_unused:UNUSED_PAD src0_sel:DWORD src1_sel:WORD_1
	v_mul_f16_sdwa v62, v9, v48 dst_sel:DWORD dst_unused:UNUSED_PAD src0_sel:DWORD src1_sel:WORD_1
	v_fmac_f16_e32 v16, v20, v47
	v_fma_f16 v20, v34, v47, -v53
	v_fma_f16 v47, v21, v40, -v54
	v_fmac_f16_e32 v52, v3, v40
	v_mul_f16_sdwa v27, v30, v42 dst_sel:DWORD dst_unused:UNUSED_PAD src0_sel:DWORD src1_sel:WORD_1
	v_mul_f16_sdwa v57, v12, v45 dst_sel:DWORD dst_unused:UNUSED_PAD src0_sel:DWORD src1_sel:WORD_1
	;; [unrolled: 1-line block ×7, first 2 shown]
	v_fma_f16 v21, v39, v46, -v55
	v_fma_f16 v34, v31, v41, -v56
	v_fmac_f16_e32 v28, v10, v41
	v_fmac_f16_e32 v17, v13, v46
	;; [unrolled: 1-line block ×3, first 2 shown]
	v_fma_f16 v31, v30, v42, -v58
	v_fmac_f16_e32 v26, v8, v43
	v_fma_f16 v30, v33, v43, -v60
	v_fmac_f16_e32 v22, v6, v51
	v_fma_f16 v12, v35, v48, -v62
	v_sub_f16_e32 v6, v52, v16
	v_sub_f16_e32 v35, v47, v20
	v_add_f16_e32 v43, v2, v52
	v_mul_f16_sdwa v19, v37, v44 dst_sel:DWORD dst_unused:UNUSED_PAD src0_sel:DWORD src1_sel:WORD_1
	v_mul_f16_sdwa v59, v7, v44 dst_sel:DWORD dst_unused:UNUSED_PAD src0_sel:DWORD src1_sel:WORD_1
	;; [unrolled: 1-line block ×3, first 2 shown]
	v_fmac_f16_e32 v27, v11, v42
	v_fmac_f16_e32 v24, v4, v49
	;; [unrolled: 1-line block ×3, first 2 shown]
	v_fma_f16 v11, v36, v49, -v64
	v_add_f16_e32 v33, v47, v20
	v_sub_f16_e32 v5, v28, v17
	v_add_f16_e32 v4, v52, v16
	v_add_f16_e32 v3, v28, v17
	v_sub_f16_e32 v36, v34, v21
	v_mul_f16_e32 v53, 0xb94e, v6
	v_mul_f16_e32 v55, 0xb94e, v35
	v_add_f16_e32 v28, v43, v28
	v_fma_f16 v10, v38, v45, -v57
	v_fmac_f16_e32 v19, v7, v44
	v_fma_f16 v7, v37, v44, -v59
	v_fmac_f16_e32 v25, v9, v48
	v_fma_f16 v8, v29, v51, -v61
	v_fma_f16 v9, v32, v50, -v63
	v_add_f16_e32 v32, v34, v21
	v_sub_f16_e32 v29, v27, v18
	v_add_f16_e32 v13, v27, v18
	v_mul_f16_e32 v54, 0x3bf1, v5
	v_mul_f16_e32 v56, 0x3bf1, v36
	;; [unrolled: 1-line block ×5, first 2 shown]
	v_fmamk_f16 v85, v33, 0xb9fd, v53
	v_fma_f16 v87, v4, 0xb9fd, -v55
	v_add_f16_e32 v27, v28, v27
	v_add_f16_e32 v44, v15, v47
	v_sub_f16_e32 v38, v26, v19
	v_add_f16_e32 v37, v26, v19
	v_mul_f16_e32 v58, 0x3770, v5
	v_mul_f16_e32 v60, 0x3770, v36
	;; [unrolled: 1-line block ×7, first 2 shown]
	v_fmamk_f16 v86, v32, 0x2fb7, v54
	v_fma_f16 v88, v3, 0x2fb7, -v56
	v_fmamk_f16 v89, v33, 0xbbc4, v57
	v_fma_f16 v57, v33, 0xbbc4, -v57
	v_fma_f16 v33, v33, 0xb9fd, -v53
	;; [unrolled: 1-line block ×3, first 2 shown]
	v_add_f16_e32 v85, v15, v85
	v_add_f16_e32 v26, v27, v26
	v_fmamk_f16 v27, v4, 0xb5ac, v63
	v_add_f16_e32 v87, v2, v87
	v_add_f16_e32 v45, v31, v10
	v_sub_f16_e32 v46, v31, v10
	v_mul_f16_e32 v62, 0xb9fd, v32
	v_mul_f16_e32 v66, 0xbbc4, v32
	;; [unrolled: 1-line block ×3, first 2 shown]
	v_add_f16_e32 v34, v44, v34
	v_mul_f16_e32 v43, 0xb5ac, v32
	v_mul_f16_e32 v72, 0x388b, v32
	;; [unrolled: 1-line block ×4, first 2 shown]
	v_fmamk_f16 v90, v32, 0x3b15, v58
	v_fma_f16 v58, v32, 0x3b15, -v58
	v_fma_f16 v32, v32, 0x2fb7, -v54
	;; [unrolled: 1-line block ×3, first 2 shown]
	v_fmac_f16_e32 v59, 0xbbc4, v4
	v_add_f16_e32 v89, v15, v89
	v_add_f16_e32 v85, v85, v86
	v_fmamk_f16 v86, v3, 0xb9fd, v64
	v_add_f16_e32 v53, v2, v53
	v_add_f16_e32 v87, v87, v88
	v_fmamk_f16 v88, v6, 0x3bf1, v65
	v_add_f16_e32 v27, v2, v27
	v_mul_f16_e32 v68, 0xb3a8, v36
	v_mul_f16_e32 v76, 0xb94e, v46
	;; [unrolled: 1-line block ×6, first 2 shown]
	v_fmac_f16_e32 v60, 0x3b15, v3
	v_fmac_f16_e32 v55, 0xb9fd, v4
	v_add_f16_e32 v31, v34, v31
	v_fmamk_f16 v28, v45, 0x388b, v73
	v_fmamk_f16 v34, v45, 0xb9fd, v75
	v_fma_f16 v75, v45, 0xb9fd, -v75
	v_fma_f16 v45, v45, 0x388b, -v73
	v_fmamk_f16 v73, v6, 0x3b7b, v61
	v_add_f16_e32 v89, v89, v90
	v_fmamk_f16 v90, v5, 0x33a8, v66
	v_add_f16_e32 v57, v15, v57
	v_add_f16_e32 v53, v53, v54
	v_fmamk_f16 v54, v4, 0x2fb7, v67
	v_add_f16_e32 v59, v2, v59
	v_add_f16_e32 v88, v15, v88
	;; [unrolled: 1-line block ×3, first 2 shown]
	v_fmamk_f16 v86, v6, 0x3770, v71
	v_add_f16_e32 v47, v30, v7
	v_sub_f16_e32 v48, v30, v7
	v_mul_f16_e32 v44, 0xba95, v35
	v_mul_f16_e32 v35, 0xb770, v35
	v_fmac_f16_e32 v56, 0x2fb7, v3
	v_add_f16_e32 v30, v31, v30
	v_fmamk_f16 v31, v5, 0xb94e, v62
	v_add_f16_e32 v33, v15, v33
	v_add_f16_e32 v57, v57, v58
	v_fmamk_f16 v58, v3, 0xbbc4, v68
	v_add_f16_e32 v55, v2, v55
	;; [unrolled: 3-line block ×3, first 2 shown]
	v_add_f16_e32 v54, v2, v54
	v_add_f16_e32 v88, v88, v90
	v_fmamk_f16 v90, v5, 0x3a95, v72
	v_add_f16_e32 v86, v15, v86
	v_fmac_f16_e32 v61, 0xbb7b, v6
	v_add_f16_e32 v28, v85, v28
	v_fma_f16 v85, v13, 0xb9fd, -v76
	v_fmac_f16_e32 v76, 0xb9fd, v13
	v_mul_f16_e32 v70, 0xbb7b, v36
	v_mul_f16_e32 v36, 0xba95, v36
	;; [unrolled: 1-line block ×5, first 2 shown]
	v_add_f16_e32 v32, v33, v32
	v_fmamk_f16 v33, v5, 0x3b7b, v43
	v_add_f16_e32 v55, v55, v56
	v_fmamk_f16 v56, v4, 0x388b, v44
	v_add_f16_e32 v31, v73, v31
	v_add_f16_e32 v60, v15, v60
	;; [unrolled: 1-line block ×3, first 2 shown]
	v_fmamk_f16 v58, v4, 0x3b15, v35
	v_add_f16_e32 v86, v86, v90
	v_mul_f16_e32 v90, 0x3a95, v38
	v_fmac_f16_e32 v62, 0x394e, v5
	v_add_f16_e32 v61, v15, v61
	v_add_f16_e32 v59, v59, v76
	v_fmamk_f16 v76, v29, 0xb770, v77
	v_sub_f16_e32 v42, v25, v22
	v_add_f16_e32 v41, v25, v22
	v_mul_f16_e32 v84, 0x33a8, v38
	v_fmamk_f16 v73, v3, 0xb5ac, v70
	v_add_f16_e32 v56, v2, v56
	v_add_f16_e32 v33, v60, v33
	v_fmamk_f16 v60, v3, 0x388b, v36
	v_add_f16_e32 v58, v2, v58
	v_fma_f16 v63, v4, 0xb5ac, -v63
	v_fmac_f16_e32 v65, 0xbbf1, v6
	v_add_f16_e32 v61, v61, v62
	v_mul_f16_e32 v62, 0x2fb7, v47
	v_add_f16_e32 v25, v26, v25
	v_fma_f16 v26, v13, 0x388b, -v74
	v_add_f16_e32 v57, v57, v75
	v_fmamk_f16 v75, v47, 0x388b, v90
	v_fma_f16 v90, v47, 0x388b, -v90
	v_fmac_f16_e32 v74, 0x388b, v13
	v_add_f16_e32 v32, v32, v45
	v_fmamk_f16 v45, v13, 0x3b15, v78
	v_add_f16_e32 v31, v31, v76
	v_fmamk_f16 v76, v13, 0xb5ac, v80
	v_add_f16_e32 v51, v12, v8
	v_sub_f16_e32 v52, v12, v8
	v_mul_f16_e32 v82, 0xb3a8, v46
	v_add_f16_e32 v56, v56, v73
	v_mul_f16_e32 v73, 0x33a8, v48
	v_add_f16_e32 v58, v58, v60
	v_mul_f16_e32 v60, 0x3a95, v48
	v_fma_f16 v64, v3, 0xb9fd, -v64
	v_add_f16_e32 v63, v2, v63
	v_fmac_f16_e32 v66, 0xb3a8, v5
	v_add_f16_e32 v65, v15, v65
	v_add_f16_e32 v12, v30, v12
	;; [unrolled: 1-line block ×3, first 2 shown]
	v_mul_f16_e32 v87, 0xb9fd, v47
	v_add_f16_e32 v53, v53, v85
	v_fmamk_f16 v85, v47, 0xbbc4, v84
	v_add_f16_e32 v55, v55, v74
	v_fmamk_f16 v74, v29, 0xbb7b, v79
	;; [unrolled: 2-line block ×4, first 2 shown]
	v_fmac_f16_e32 v77, 0x3770, v29
	v_add_f16_e32 v57, v57, v90
	v_fmamk_f16 v90, v38, 0x3bf1, v62
	v_add_f16_e32 v49, v11, v9
	v_sub_f16_e32 v50, v11, v9
	v_mul_f16_e32 v46, 0xbbf1, v46
	v_add_f16_e32 v63, v63, v64
	v_mul_f16_e32 v64, 0xbbf1, v48
	v_add_f16_e32 v65, v65, v66
	v_mul_f16_e32 v66, 0x3b15, v47
	v_mul_f16_e32 v30, 0x3770, v48
	v_fma_f16 v84, v47, 0xbbc4, -v84
	v_add_f16_e32 v74, v88, v74
	v_fmamk_f16 v88, v13, 0xbbc4, v82
	v_add_f16_e32 v33, v33, v45
	v_mul_f16_e32 v45, 0x3770, v42
	v_add_f16_e32 v76, v86, v76
	v_mul_f16_e32 v86, 0x3770, v52
	v_add_f16_e32 v61, v61, v77
	v_fmac_f16_e32 v79, 0x3b7b, v29
	v_add_f16_e32 v11, v12, v11
	v_fma_f16 v12, v37, 0xbbc4, -v73
	v_add_f16_e32 v28, v28, v85
	v_fma_f16 v85, v37, 0x388b, -v60
	v_fmac_f16_e32 v60, 0x388b, v37
	v_fmac_f16_e32 v73, 0xbbc4, v37
	v_add_f16_e32 v31, v31, v90
	v_fmamk_f16 v90, v38, 0xb94e, v87
	v_fmac_f16_e32 v62, 0xbbf1, v38
	v_sub_f16_e32 v40, v24, v23
	v_add_f16_e32 v39, v24, v23
	v_add_f16_e32 v34, v89, v34
	v_mul_f16_e32 v89, 0x394e, v48
	v_mul_f16_e32 v48, 0xbb7b, v48
	v_add_f16_e32 v56, v56, v88
	v_fmamk_f16 v88, v13, 0x2fb7, v46
	v_fma_f16 v78, v13, 0x3b15, -v78
	v_mul_f16_e32 v77, 0xbb7b, v52
	v_add_f16_e32 v24, v25, v24
	v_mul_f16_e32 v25, 0x33a8, v52
	v_add_f16_e32 v65, v65, v79
	;; [unrolled: 2-line block ×3, first 2 shown]
	v_fmamk_f16 v60, v37, 0x2fb7, v64
	v_add_f16_e32 v32, v32, v84
	v_fmamk_f16 v84, v38, 0xb770, v66
	v_add_f16_e32 v55, v55, v73
	v_fmamk_f16 v73, v37, 0x3b15, v30
	v_add_f16_e32 v33, v33, v90
	v_fmamk_f16 v90, v51, 0x3b15, v45
	v_fma_f16 v45, v51, 0x3b15, -v45
	v_add_f16_e32 v61, v61, v62
	v_fma_f16 v62, v41, 0x3b15, -v86
	v_fmac_f16_e32 v86, 0x3b15, v41
	v_add_f16_e32 v58, v58, v88
	v_add_f16_e32 v63, v63, v78
	v_mul_f16_e32 v78, 0xbbc4, v51
	v_add_f16_e32 v34, v34, v75
	v_mul_f16_e32 v75, 0x2fb7, v51
	;; [unrolled: 2-line block ×3, first 2 shown]
	v_add_f16_e32 v27, v27, v60
	v_fmamk_f16 v60, v37, 0xb9fd, v89
	v_add_f16_e32 v74, v74, v84
	v_add_f16_e32 v54, v54, v73
	v_fmamk_f16 v73, v37, 0xb5ac, v48
	v_add_f16_e32 v23, v24, v23
	v_add_f16_e32 v28, v28, v90
	v_fma_f16 v90, v41, 0xb5ac, -v77
	v_fmac_f16_e32 v77, 0xb5ac, v41
	v_add_f16_e32 v32, v32, v45
	v_fmamk_f16 v45, v41, 0xbbc4, v25
	v_add_f16_e32 v55, v55, v86
	v_fmamk_f16 v86, v42, 0x3a95, v79
	v_add_f16_e32 v12, v26, v12
	v_mul_f16_e32 v26, 0xba95, v52
	v_add_f16_e32 v56, v56, v60
	v_mul_f16_e32 v52, 0xb94e, v52
	v_add_f16_e32 v58, v58, v73
	v_mul_f16_e32 v73, 0xbb7b, v50
	v_add_f16_e32 v9, v11, v9
	v_mul_f16_e32 v11, 0x3bf1, v50
	v_add_f16_e32 v59, v59, v77
	v_fmamk_f16 v77, v42, 0xb3a8, v78
	v_add_f16_e32 v27, v27, v45
	v_fmamk_f16 v45, v42, 0xbbf1, v75
	;; [unrolled: 2-line block ×3, first 2 shown]
	v_add_f16_e32 v22, v22, v23
	v_mul_f16_e32 v47, 0xb5ac, v47
	v_mul_f16_e32 v88, 0xbb7b, v42
	v_fma_f16 v64, v37, 0x2fb7, -v64
	v_add_f16_e32 v12, v12, v62
	v_mul_f16_e32 v62, 0x3a95, v50
	v_add_f16_e32 v53, v53, v90
	v_mul_f16_e32 v90, 0xb94e, v50
	v_add_f16_e32 v31, v31, v77
	v_fmamk_f16 v77, v41, 0x388b, v26
	v_add_f16_e32 v33, v33, v45
	v_fmamk_f16 v45, v41, 0xb9fd, v52
	v_add_f16_e32 v56, v56, v86
	v_mul_f16_e32 v86, 0x3770, v50
	v_mul_f16_e32 v50, 0xb3a8, v50
	v_fma_f16 v23, v39, 0xb5ac, -v73
	v_add_f16_e32 v8, v8, v9
	v_fma_f16 v9, v39, 0x2fb7, -v11
	v_fmac_f16_e32 v11, 0x2fb7, v39
	v_add_f16_e32 v19, v19, v22
	v_fmamk_f16 v84, v38, 0x3b7b, v47
	v_fmamk_f16 v60, v51, 0xb5ac, v88
	v_fma_f16 v88, v51, 0xb5ac, -v88
	v_mul_f16_e32 v51, 0xb9fd, v51
	v_add_f16_e32 v63, v63, v64
	v_add_f16_e32 v54, v54, v77
	;; [unrolled: 1-line block ×3, first 2 shown]
	v_fma_f16 v25, v41, 0xbbc4, -v25
	v_add_f16_e32 v23, v12, v23
	v_fmamk_f16 v12, v39, 0xb9fd, v90
	v_add_f16_e32 v53, v53, v9
	v_fmamk_f16 v9, v39, 0x3b15, v86
	;; [unrolled: 2-line block ×3, first 2 shown]
	v_fma_f16 v67, v4, 0x2fb7, -v67
	v_add_f16_e32 v7, v7, v8
	v_add_f16_e32 v8, v18, v19
	;; [unrolled: 1-line block ×3, first 2 shown]
	v_mul_f16_e32 v84, 0xbb7b, v40
	v_fmamk_f16 v77, v42, 0x394e, v51
	v_add_f16_e32 v25, v63, v25
	v_add_f16_e32 v22, v54, v12
	;; [unrolled: 1-line block ×6, first 2 shown]
	v_fma_f16 v9, v39, 0x388b, -v62
	v_add_f16_e32 v10, v2, v67
	v_fma_f16 v11, v3, 0xbbc4, -v68
	v_fmac_f16_e32 v66, 0x3770, v38
	v_add_f16_e32 v34, v34, v60
	v_mul_f16_e32 v60, 0xb9fd, v49
	v_add_f16_e32 v76, v76, v77
	v_fmamk_f16 v77, v49, 0xb5ac, v84
	v_add_f16_e32 v7, v21, v7
	v_add_f16_e32 v17, v25, v9
	;; [unrolled: 1-line block ×4, first 2 shown]
	v_fma_f16 v9, v13, 0xb5ac, -v80
	v_add_f16_e32 v10, v65, v66
	v_fmac_f16_e32 v79, 0xba95, v42
	v_add_f16_e32 v28, v28, v77
	v_fmamk_f16 v77, v40, 0x394e, v60
	v_add_f16_e32 v11, v20, v7
	v_add_f16_e32 v7, v8, v9
	v_fma_f16 v8, v37, 0x3b15, -v30
	v_add_f16_e32 v9, v10, v79
	v_fmac_f16_e32 v60, 0xb94e, v40
	v_fma_f16 v21, v3, 0xb5ac, -v70
	v_fmac_f16_e32 v69, 0xba95, v6
	v_add_f16_e32 v7, v7, v8
	v_fma_f16 v8, v41, 0x388b, -v26
	v_add_f16_e32 v20, v9, v60
	v_fma_f16 v9, v4, 0x388b, -v44
	v_fmac_f16_e32 v71, 0xb770, v6
	v_fmac_f16_e32 v43, 0xbb7b, v5
	v_add_f16_e32 v7, v7, v8
	v_fma_f16 v8, v39, 0xb9fd, -v90
	v_add_f16_e32 v9, v2, v9
	v_fmac_f16_e32 v72, 0xba95, v5
	v_fma_f16 v4, v4, 0x3b15, -v35
	v_fmac_f16_e32 v83, 0xbbf1, v29
	v_add_f16_e32 v25, v7, v8
	v_add_f16_e32 v6, v9, v21
	v_fma_f16 v7, v13, 0xbbc4, -v82
	v_add_f16_e32 v9, v15, v71
	v_add_f16_e32 v2, v2, v4
	v_fma_f16 v3, v3, 0x388b, -v36
	v_fmac_f16_e32 v47, 0xbb7b, v38
	v_add_f16_e32 v5, v6, v7
	v_fma_f16 v6, v37, 0xb9fd, -v89
	v_add_f16_e32 v7, v9, v72
	v_add_f16_e32 v10, v15, v69
	v_fmac_f16_e32 v51, 0xb94e, v42
	v_add_nc_u32_e32 v15, 63, v14
	v_add_f16_e32 v5, v5, v6
	v_fma_f16 v6, v41, 0x2fb7, -v85
	v_add_f16_e32 v4, v7, v83
	v_add_f16_e32 v10, v10, v43
	v_fmac_f16_e32 v81, 0xb3a8, v29
	v_fmac_f16_e32 v87, 0x394e, v38
	v_add_f16_e32 v9, v5, v6
	v_add_f16_e32 v5, v2, v3
	v_fma_f16 v6, v13, 0x2fb7, -v46
	v_add_f16_e32 v4, v4, v47
	v_mad_u64_u32 v[2:3], null, s2, v14, 0
	v_add_f16_e32 v10, v10, v81
	v_add_f16_e32 v5, v5, v6
	v_fma_f16 v6, v37, 0xb5ac, -v48
	v_add_f16_e32 v13, v4, v51
	v_mul_f16_e32 v24, 0x3bf1, v40
	v_add_f16_e32 v8, v10, v87
	v_fma_f16 v10, v39, 0x3b15, -v86
	v_add_f16_e32 v21, v5, v6
	v_mad_u64_u32 v[4:5], null, s2, v15, 0
	v_mul_f16_e32 v64, 0x388b, v49
	v_add_f16_e32 v57, v57, v88
	v_mul_f16_e32 v88, 0x3b15, v49
	v_fmamk_f16 v58, v49, 0x2fb7, v24
	v_fma_f16 v24, v49, 0x2fb7, -v24
	v_fma_f16 v84, v49, 0xb5ac, -v84
	v_mad_u64_u32 v[6:7], null, s3, v14, v[3:4]
	v_mul_f16_e32 v49, 0xbbc4, v49
	v_fmac_f16_e32 v75, 0x3bf1, v42
	v_add_f16_e32 v30, v9, v10
	v_add_nc_u32_e32 v10, 0x7e, v14
	v_add_f16_e32 v24, v57, v24
	v_fmamk_f16 v57, v40, 0x33a8, v49
	v_fmac_f16_e32 v49, 0xb3a8, v40
	v_fma_f16 v26, v41, 0xb9fd, -v52
	v_mov_b32_e32 v3, v6
	v_mad_u64_u32 v[5:6], null, s3, v15, v[5:6]
	v_add_f16_e32 v34, v34, v58
	v_fmamk_f16 v58, v40, 0xb770, v88
	v_add_f16_e32 v8, v8, v75
	v_fmac_f16_e32 v88, 0x3770, v40
	v_mad_u64_u32 v[6:7], null, s2, v10, 0
	v_add_nc_u32_e32 v36, 0xbd, v14
	v_add_co_u32 v15, vcc_lo, s12, v0
	v_add_f16_e32 v35, v13, v49
	v_add_f16_e32 v13, v21, v26
	v_add_co_ci_u32_e32 v26, vcc_lo, s13, v1, vcc_lo
	v_lshlrev_b64 v[0:1], 2, v[2:3]
	v_add_f16_e32 v29, v8, v88
	v_mad_u64_u32 v[8:9], null, s2, v36, 0
	v_lshlrev_b64 v[3:4], 2, v[4:5]
	v_mov_b32_e32 v2, v7
	v_add_co_u32 v0, vcc_lo, v15, v0
	v_add_co_ci_u32_e32 v1, vcc_lo, v26, v1, vcc_lo
	v_add_f16_e32 v12, v76, v57
	v_pack_b32_f16 v5, v16, v11
	v_mad_u64_u32 v[10:11], null, s3, v10, v[2:3]
	v_mov_b32_e32 v2, v9
	v_add_co_u32 v3, vcc_lo, v15, v3
	v_pack_b32_f16 v9, v18, v12
	v_add_co_ci_u32_e32 v4, vcc_lo, v26, v4, vcc_lo
	v_mad_u64_u32 v[11:12], null, s3, v36, v[2:3]
	v_mov_b32_e32 v7, v10
	v_add_nc_u32_e32 v10, 0xfc, v14
	v_add_nc_u32_e32 v12, 0x13b, v14
	global_store_dword v[0:1], v5, off
	global_store_dword v[3:4], v9, off
	v_add_nc_u32_e32 v18, 0x17a, v14
	v_lshlrev_b64 v[0:1], 2, v[6:7]
	v_mov_b32_e32 v9, v11
	v_mad_u64_u32 v[2:3], null, s2, v10, 0
	v_mad_u64_u32 v[4:5], null, s2, v12, 0
	v_lshlrev_b64 v[6:7], 2, v[8:9]
	v_mad_u64_u32 v[8:9], null, s2, v18, 0
	v_fmamk_f16 v63, v39, 0x388b, v62
	v_add_f16_e32 v33, v33, v58
	v_fma_f16 v21, v39, 0xbbc4, -v50
	v_mad_u64_u32 v[10:11], null, s3, v10, v[3:4]
	v_mad_u64_u32 v[11:12], null, s3, v12, v[5:6]
	v_add_co_u32 v0, vcc_lo, v15, v0
	v_add_f16_e32 v27, v27, v63
	v_add_f16_e32 v63, v74, v77
	;; [unrolled: 1-line block ×3, first 2 shown]
	v_add_co_ci_u32_e32 v1, vcc_lo, v26, v1, vcc_lo
	v_pack_b32_f16 v13, v54, v33
	v_mov_b32_e32 v3, v10
	v_mad_u64_u32 v[9:10], null, s3, v18, v[9:10]
	v_add_co_u32 v6, vcc_lo, v15, v6
	v_mov_b32_e32 v5, v11
	v_add_nc_u32_e32 v10, 0x1b9, v14
	v_fmac_f16_e32 v78, 0x33a8, v42
	v_add_co_ci_u32_e32 v7, vcc_lo, v26, v7, vcc_lo
	v_pack_b32_f16 v12, v22, v63
	global_store_dword v[0:1], v13, off
	v_lshlrev_b64 v[0:1], 2, v[2:3]
	v_lshlrev_b64 v[2:3], 2, v[4:5]
	v_mad_u64_u32 v[4:5], null, s2, v10, 0
	v_fmac_f16_e32 v73, 0xb5ac, v39
	v_add_f16_e32 v61, v61, v78
	v_fmamk_f16 v78, v40, 0xba95, v64
	global_store_dword v[6:7], v12, off
	v_lshlrev_b64 v[6:7], 2, v[8:9]
	v_add_co_u32 v0, vcc_lo, v15, v0
	v_add_co_ci_u32_e32 v1, vcc_lo, v26, v1, vcc_lo
	v_add_f16_e32 v32, v32, v84
	v_add_f16_e32 v55, v55, v73
	;; [unrolled: 1-line block ×3, first 2 shown]
	v_add_co_u32 v2, vcc_lo, v15, v2
	v_add_co_ci_u32_e32 v3, vcc_lo, v26, v3, vcc_lo
	v_mad_u64_u32 v[8:9], null, s3, v10, v[5:6]
	v_add_co_u32 v6, vcc_lo, v15, v6
	v_pack_b32_f16 v11, v27, v31
	v_pack_b32_f16 v9, v55, v32
	v_add_co_ci_u32_e32 v7, vcc_lo, v26, v7, vcc_lo
	v_pack_b32_f16 v10, v59, v24
	global_store_dword v[0:1], v11, off
	v_mov_b32_e32 v5, v8
	global_store_dword v[2:3], v9, off
	v_add_nc_u32_e32 v8, 0x1f8, v14
	global_store_dword v[6:7], v10, off
	v_add_nc_u32_e32 v10, 0x237, v14
	v_add_nc_u32_e32 v12, 0x276, v14
	v_lshlrev_b64 v[0:1], 2, v[4:5]
	v_mad_u64_u32 v[2:3], null, s2, v8, 0
	v_mad_u64_u32 v[4:5], null, s2, v10, 0
	;; [unrolled: 1-line block ×3, first 2 shown]
	v_add_nc_u32_e32 v18, 0x2b5, v14
	v_add_co_u32 v0, vcc_lo, v15, v0
	v_add_co_ci_u32_e32 v1, vcc_lo, v26, v1, vcc_lo
	v_mad_u64_u32 v[8:9], null, s3, v8, v[3:4]
	v_mad_u64_u32 v[9:10], null, s3, v10, v[5:6]
	v_mov_b32_e32 v5, v7
	v_mad_u64_u32 v[10:11], null, s2, v18, 0
	v_pack_b32_f16 v13, v53, v34
	v_mov_b32_e32 v3, v8
	v_mad_u64_u32 v[7:8], null, s3, v12, v[5:6]
	v_add_nc_u32_e32 v12, 0x2f4, v14
	v_mov_b32_e32 v5, v9
	global_store_dword v[0:1], v13, off
	v_lshlrev_b64 v[0:1], 2, v[2:3]
	v_mov_b32_e32 v2, v11
	v_mad_u64_u32 v[8:9], null, s2, v12, 0
	v_lshlrev_b64 v[4:5], 2, v[4:5]
	v_lshlrev_b64 v[6:7], 2, v[6:7]
	v_mad_u64_u32 v[2:3], null, s3, v18, v[2:3]
	v_add_co_u32 v0, vcc_lo, v15, v0
	v_mov_b32_e32 v3, v9
	v_add_co_ci_u32_e32 v1, vcc_lo, v26, v1, vcc_lo
	v_fmac_f16_e32 v64, 0x3a95, v40
	v_mov_b32_e32 v11, v2
	v_mad_u64_u32 v[12:13], null, s3, v12, v[3:4]
	v_add_co_u32 v2, vcc_lo, v15, v4
	v_add_co_ci_u32_e32 v3, vcc_lo, v26, v5, vcc_lo
	v_lshlrev_b64 v[4:5], 2, v[10:11]
	v_add_f16_e32 v19, v61, v64
	v_mov_b32_e32 v9, v12
	v_add_co_u32 v6, vcc_lo, v15, v6
	v_add_co_ci_u32_e32 v7, vcc_lo, v26, v7, vcc_lo
	v_lshlrev_b64 v[8:9], 2, v[8:9]
	v_add_co_u32 v4, vcc_lo, v15, v4
	v_pack_b32_f16 v14, v23, v28
	v_pack_b32_f16 v13, v17, v19
	v_add_co_ci_u32_e32 v5, vcc_lo, v26, v5, vcc_lo
	v_pack_b32_f16 v10, v25, v20
	v_add_co_u32 v8, vcc_lo, v15, v8
	v_pack_b32_f16 v11, v30, v29
	v_add_co_ci_u32_e32 v9, vcc_lo, v26, v9, vcc_lo
	v_pack_b32_f16 v12, v16, v35
	global_store_dword v[0:1], v14, off
	global_store_dword v[2:3], v13, off
	global_store_dword v[6:7], v10, off
	global_store_dword v[4:5], v11, off
	global_store_dword v[8:9], v12, off
	s_endpgm
	.section	.rodata,"a",@progbits
	.p2align	6, 0x0
	.amdhsa_kernel fft_rtc_back_len819_factors_9_7_13_wgs_117_tpt_117_half_ip_CI_sbrr_dirReg
		.amdhsa_group_segment_fixed_size 0
		.amdhsa_private_segment_fixed_size 0
		.amdhsa_kernarg_size 88
		.amdhsa_user_sgpr_count 6
		.amdhsa_user_sgpr_private_segment_buffer 1
		.amdhsa_user_sgpr_dispatch_ptr 0
		.amdhsa_user_sgpr_queue_ptr 0
		.amdhsa_user_sgpr_kernarg_segment_ptr 1
		.amdhsa_user_sgpr_dispatch_id 0
		.amdhsa_user_sgpr_flat_scratch_init 0
		.amdhsa_user_sgpr_private_segment_size 0
		.amdhsa_wavefront_size32 1
		.amdhsa_uses_dynamic_stack 0
		.amdhsa_system_sgpr_private_segment_wavefront_offset 0
		.amdhsa_system_sgpr_workgroup_id_x 1
		.amdhsa_system_sgpr_workgroup_id_y 0
		.amdhsa_system_sgpr_workgroup_id_z 0
		.amdhsa_system_sgpr_workgroup_info 0
		.amdhsa_system_vgpr_workitem_id 0
		.amdhsa_next_free_vgpr 91
		.amdhsa_next_free_sgpr 23
		.amdhsa_reserve_vcc 1
		.amdhsa_reserve_flat_scratch 0
		.amdhsa_float_round_mode_32 0
		.amdhsa_float_round_mode_16_64 0
		.amdhsa_float_denorm_mode_32 3
		.amdhsa_float_denorm_mode_16_64 3
		.amdhsa_dx10_clamp 1
		.amdhsa_ieee_mode 1
		.amdhsa_fp16_overflow 0
		.amdhsa_workgroup_processor_mode 1
		.amdhsa_memory_ordered 1
		.amdhsa_forward_progress 0
		.amdhsa_shared_vgpr_count 0
		.amdhsa_exception_fp_ieee_invalid_op 0
		.amdhsa_exception_fp_denorm_src 0
		.amdhsa_exception_fp_ieee_div_zero 0
		.amdhsa_exception_fp_ieee_overflow 0
		.amdhsa_exception_fp_ieee_underflow 0
		.amdhsa_exception_fp_ieee_inexact 0
		.amdhsa_exception_int_div_zero 0
	.end_amdhsa_kernel
	.text
.Lfunc_end0:
	.size	fft_rtc_back_len819_factors_9_7_13_wgs_117_tpt_117_half_ip_CI_sbrr_dirReg, .Lfunc_end0-fft_rtc_back_len819_factors_9_7_13_wgs_117_tpt_117_half_ip_CI_sbrr_dirReg
                                        ; -- End function
	.section	.AMDGPU.csdata,"",@progbits
; Kernel info:
; codeLenInByte = 7588
; NumSgprs: 25
; NumVgprs: 91
; ScratchSize: 0
; MemoryBound: 0
; FloatMode: 240
; IeeeMode: 1
; LDSByteSize: 0 bytes/workgroup (compile time only)
; SGPRBlocks: 3
; VGPRBlocks: 11
; NumSGPRsForWavesPerEU: 25
; NumVGPRsForWavesPerEU: 91
; Occupancy: 10
; WaveLimiterHint : 1
; COMPUTE_PGM_RSRC2:SCRATCH_EN: 0
; COMPUTE_PGM_RSRC2:USER_SGPR: 6
; COMPUTE_PGM_RSRC2:TRAP_HANDLER: 0
; COMPUTE_PGM_RSRC2:TGID_X_EN: 1
; COMPUTE_PGM_RSRC2:TGID_Y_EN: 0
; COMPUTE_PGM_RSRC2:TGID_Z_EN: 0
; COMPUTE_PGM_RSRC2:TIDIG_COMP_CNT: 0
	.text
	.p2alignl 6, 3214868480
	.fill 48, 4, 3214868480
	.type	__hip_cuid_cd509fbb3fbaecd8,@object ; @__hip_cuid_cd509fbb3fbaecd8
	.section	.bss,"aw",@nobits
	.globl	__hip_cuid_cd509fbb3fbaecd8
__hip_cuid_cd509fbb3fbaecd8:
	.byte	0                               ; 0x0
	.size	__hip_cuid_cd509fbb3fbaecd8, 1

	.ident	"AMD clang version 19.0.0git (https://github.com/RadeonOpenCompute/llvm-project roc-6.4.0 25133 c7fe45cf4b819c5991fe208aaa96edf142730f1d)"
	.section	".note.GNU-stack","",@progbits
	.addrsig
	.addrsig_sym __hip_cuid_cd509fbb3fbaecd8
	.amdgpu_metadata
---
amdhsa.kernels:
  - .args:
      - .actual_access:  read_only
        .address_space:  global
        .offset:         0
        .size:           8
        .value_kind:     global_buffer
      - .offset:         8
        .size:           8
        .value_kind:     by_value
      - .actual_access:  read_only
        .address_space:  global
        .offset:         16
        .size:           8
        .value_kind:     global_buffer
      - .actual_access:  read_only
        .address_space:  global
        .offset:         24
        .size:           8
        .value_kind:     global_buffer
      - .offset:         32
        .size:           8
        .value_kind:     by_value
      - .actual_access:  read_only
        .address_space:  global
        .offset:         40
        .size:           8
        .value_kind:     global_buffer
      - .actual_access:  read_only
        .address_space:  global
        .offset:         48
        .size:           8
        .value_kind:     global_buffer
      - .offset:         56
        .size:           4
        .value_kind:     by_value
      - .actual_access:  read_only
        .address_space:  global
        .offset:         64
        .size:           8
        .value_kind:     global_buffer
      - .actual_access:  read_only
        .address_space:  global
        .offset:         72
        .size:           8
        .value_kind:     global_buffer
      - .address_space:  global
        .offset:         80
        .size:           8
        .value_kind:     global_buffer
    .group_segment_fixed_size: 0
    .kernarg_segment_align: 8
    .kernarg_segment_size: 88
    .language:       OpenCL C
    .language_version:
      - 2
      - 0
    .max_flat_workgroup_size: 117
    .name:           fft_rtc_back_len819_factors_9_7_13_wgs_117_tpt_117_half_ip_CI_sbrr_dirReg
    .private_segment_fixed_size: 0
    .sgpr_count:     25
    .sgpr_spill_count: 0
    .symbol:         fft_rtc_back_len819_factors_9_7_13_wgs_117_tpt_117_half_ip_CI_sbrr_dirReg.kd
    .uniform_work_group_size: 1
    .uses_dynamic_stack: false
    .vgpr_count:     91
    .vgpr_spill_count: 0
    .wavefront_size: 32
    .workgroup_processor_mode: 1
amdhsa.target:   amdgcn-amd-amdhsa--gfx1030
amdhsa.version:
  - 1
  - 2
...

	.end_amdgpu_metadata
